;; amdgpu-corpus repo=ROCm/rocFFT kind=compiled arch=gfx906 opt=O3
	.text
	.amdgcn_target "amdgcn-amd-amdhsa--gfx906"
	.amdhsa_code_object_version 6
	.protected	bluestein_single_fwd_len1050_dim1_dp_op_CI_CI ; -- Begin function bluestein_single_fwd_len1050_dim1_dp_op_CI_CI
	.globl	bluestein_single_fwd_len1050_dim1_dp_op_CI_CI
	.p2align	8
	.type	bluestein_single_fwd_len1050_dim1_dp_op_CI_CI,@function
bluestein_single_fwd_len1050_dim1_dp_op_CI_CI: ; @bluestein_single_fwd_len1050_dim1_dp_op_CI_CI
; %bb.0:
	s_load_dwordx4 s[8:11], s[4:5], 0x28
	v_mul_u32_u24_e32 v1, 0x139, v0
	v_add_u32_sdwa v108, s6, v1 dst_sel:DWORD dst_unused:UNUSED_PAD src0_sel:DWORD src1_sel:WORD_1
	v_mov_b32_e32 v109, 0
	s_waitcnt lgkmcnt(0)
	v_cmp_gt_u64_e32 vcc, s[8:9], v[108:109]
	s_and_saveexec_b64 s[0:1], vcc
	s_cbranch_execz .LBB0_31
; %bb.1:
	s_load_dwordx4 s[0:3], s[4:5], 0x18
	s_load_dwordx2 s[16:17], s[4:5], 0x0
	s_waitcnt lgkmcnt(0)
	s_load_dwordx4 s[12:15], s[0:1], 0x0
	s_movk_i32 s0, 0xd2
	v_mul_lo_u16_sdwa v1, v1, s0 dst_sel:DWORD dst_unused:UNUSED_PAD src0_sel:WORD_1 src1_sel:DWORD
	v_sub_u16_e32 v124, v0, v1
	v_lshlrev_b32_e32 v121, 4, v124
	s_waitcnt lgkmcnt(0)
	v_mad_u64_u32 v[0:1], s[0:1], s14, v108, 0
	v_mad_u64_u32 v[2:3], s[0:1], s12, v124, 0
	v_add_co_u32_e64 v122, s[8:9], s16, v121
	v_mad_u64_u32 v[4:5], s[0:1], s15, v108, v[1:2]
	v_mad_u64_u32 v[5:6], s[0:1], s13, v124, v[3:4]
	v_mov_b32_e32 v1, v4
	v_lshlrev_b64 v[0:1], 4, v[0:1]
	v_mov_b32_e32 v6, s11
	v_mov_b32_e32 v3, v5
	v_add_co_u32_e32 v4, vcc, s10, v0
	v_addc_co_u32_e32 v5, vcc, v6, v1, vcc
	v_lshlrev_b64 v[0:1], 4, v[2:3]
	s_mul_i32 s0, s13, 0x20d
	s_mul_hi_u32 s1, s12, 0x20d
	v_add_co_u32_e32 v0, vcc, v4, v0
	v_mov_b32_e32 v2, s17
	s_add_i32 s1, s1, s0
	s_mul_i32 s0, s12, 0x20d
	v_addc_co_u32_e32 v1, vcc, v5, v1, vcc
	v_addc_co_u32_e64 v123, vcc, 0, v2, s[8:9]
	s_lshl_b64 s[6:7], s[0:1], 4
	v_mov_b32_e32 v10, s7
	v_add_co_u32_e32 v4, vcc, s6, v0
	v_addc_co_u32_e32 v5, vcc, v1, v10, vcc
	s_movk_i32 s0, 0x2000
	s_mul_hi_u32 s1, s12, 0xfffffec5
	v_add_co_u32_e32 v34, vcc, s0, v122
	s_mul_i32 s0, s13, 0xfffffec5
	s_sub_i32 s1, s1, s12
	s_add_i32 s1, s1, s0
	s_mul_i32 s0, s12, 0xfffffec5
	v_addc_co_u32_e32 v35, vcc, 0, v123, vcc
	s_lshl_b64 s[18:19], s[0:1], 4
	v_mov_b32_e32 v6, s19
	v_add_co_u32_e32 v8, vcc, s18, v4
	v_addc_co_u32_e32 v9, vcc, v5, v6, vcc
	global_load_dwordx4 v[18:21], v[0:1], off
	global_load_dwordx4 v[22:25], v[4:5], off
	v_add_co_u32_e32 v16, vcc, s6, v8
	global_load_dwordx4 v[0:3], v[34:35], off offset:208
	global_load_dwordx4 v[26:29], v[8:9], off
	global_load_dwordx4 v[12:15], v121, s[16:17]
	global_load_dwordx4 v[4:7], v121, s[16:17] offset:3360
	v_addc_co_u32_e32 v17, vcc, v9, v10, vcc
	global_load_dwordx4 v[8:11], v[34:35], off offset:3568
	global_load_dwordx4 v[30:33], v[16:17], off
	s_load_dwordx2 s[10:11], s[4:5], 0x38
	s_load_dwordx4 s[12:15], s[2:3], 0x0
	s_movk_i32 s0, 0x69
	v_cmp_gt_u16_e64 s[0:1], s0, v124
	s_waitcnt vmcnt(5)
	v_mul_f64 v[38:39], v[24:25], v[2:3]
	s_waitcnt vmcnt(3)
	v_mul_f64 v[34:35], v[20:21], v[14:15]
	v_mul_f64 v[36:37], v[18:19], v[14:15]
	;; [unrolled: 1-line block ×3, first 2 shown]
	s_waitcnt vmcnt(2)
	v_mul_f64 v[42:43], v[28:29], v[6:7]
	v_mul_f64 v[44:45], v[26:27], v[6:7]
	s_waitcnt vmcnt(0)
	v_mul_f64 v[46:47], v[32:33], v[10:11]
	v_mul_f64 v[48:49], v[30:31], v[10:11]
	v_fma_f64 v[22:23], v[22:23], v[0:1], v[38:39]
	v_fma_f64 v[18:19], v[18:19], v[12:13], v[34:35]
	v_fma_f64 v[20:21], v[20:21], v[12:13], -v[36:37]
	v_fma_f64 v[24:25], v[24:25], v[0:1], -v[40:41]
	v_fma_f64 v[26:27], v[26:27], v[4:5], v[42:43]
	v_fma_f64 v[28:29], v[28:29], v[4:5], -v[44:45]
	v_fma_f64 v[30:31], v[30:31], v[8:9], v[46:47]
	v_fma_f64 v[32:33], v[32:33], v[8:9], -v[48:49]
	ds_write_b128 v121, v[18:21]
	ds_write_b128 v121, v[22:25] offset:8400
	ds_write_b128 v121, v[26:29] offset:3360
	;; [unrolled: 1-line block ×3, first 2 shown]
	s_and_saveexec_b64 s[2:3], s[0:1]
	s_cbranch_execz .LBB0_3
; %bb.2:
	v_mov_b32_e32 v18, s19
	v_add_co_u32_e32 v24, vcc, s18, v16
	v_addc_co_u32_e32 v25, vcc, v17, v18, vcc
	v_add_co_u32_e32 v20, vcc, 0x1000, v122
	v_addc_co_u32_e32 v21, vcc, 0, v123, vcc
	v_mov_b32_e32 v26, s7
	v_add_co_u32_e32 v32, vcc, s6, v24
	v_addc_co_u32_e32 v33, vcc, v25, v26, vcc
	s_movk_i32 s6, 0x3000
	v_add_co_u32_e32 v34, vcc, s6, v122
	global_load_dwordx4 v[16:19], v[24:25], off
	v_addc_co_u32_e32 v35, vcc, 0, v123, vcc
	global_load_dwordx4 v[20:23], v[20:21], off offset:2624
	s_nop 0
	global_load_dwordx4 v[24:27], v[34:35], off offset:2832
	global_load_dwordx4 v[28:31], v[32:33], off
	s_waitcnt vmcnt(2)
	v_mul_f64 v[32:33], v[18:19], v[22:23]
	v_mul_f64 v[22:23], v[16:17], v[22:23]
	s_waitcnt vmcnt(0)
	v_mul_f64 v[34:35], v[30:31], v[26:27]
	v_mul_f64 v[26:27], v[28:29], v[26:27]
	v_fma_f64 v[16:17], v[16:17], v[20:21], v[32:33]
	v_fma_f64 v[18:19], v[18:19], v[20:21], -v[22:23]
	v_fma_f64 v[20:21], v[28:29], v[24:25], v[34:35]
	v_fma_f64 v[22:23], v[30:31], v[24:25], -v[26:27]
	ds_write_b128 v121, v[16:19] offset:6720
	ds_write_b128 v121, v[20:23] offset:15120
.LBB0_3:
	s_or_b64 exec, exec, s[2:3]
	s_waitcnt lgkmcnt(0)
	s_barrier
	ds_read_b128 v[16:19], v121
	ds_read_b128 v[20:23], v121 offset:3360
	ds_read_b128 v[36:39], v121 offset:8400
	;; [unrolled: 1-line block ×3, first 2 shown]
                                        ; implicit-def: $vgpr28_vgpr29
                                        ; implicit-def: $vgpr32_vgpr33
	s_and_saveexec_b64 s[2:3], s[0:1]
	s_cbranch_execz .LBB0_5
; %bb.4:
	ds_read_b128 v[28:31], v121 offset:6720
	ds_read_b128 v[32:35], v121 offset:15120
.LBB0_5:
	s_or_b64 exec, exec, s[2:3]
	s_waitcnt lgkmcnt(1)
	v_add_f64 v[36:37], v[16:17], -v[36:37]
	v_add_f64 v[38:39], v[18:19], -v[38:39]
	s_waitcnt lgkmcnt(0)
	v_add_f64 v[24:25], v[20:21], -v[24:25]
	v_add_f64 v[26:27], v[22:23], -v[26:27]
	;; [unrolled: 1-line block ×4, first 2 shown]
	s_load_dwordx2 s[4:5], s[4:5], 0x8
	s_movk_i32 s2, 0xd2
	v_fma_f64 v[16:17], v[16:17], 2.0, -v[36:37]
	v_fma_f64 v[18:19], v[18:19], 2.0, -v[38:39]
	;; [unrolled: 1-line block ×6, first 2 shown]
	v_add_co_u32_e32 v48, vcc, s2, v124
	s_movk_i32 s2, 0x1a4
	v_add_co_u32_e32 v40, vcc, s2, v124
	v_lshlrev_b16_e32 v41, 1, v124
	v_lshlrev_b32_e32 v127, 4, v41
	v_lshlrev_b32_e32 v128, 5, v48
	;; [unrolled: 1-line block ×3, first 2 shown]
	s_waitcnt lgkmcnt(0)
	s_barrier
	ds_write_b128 v127, v[16:19]
	ds_write_b128 v127, v[36:39] offset:16
	ds_write_b128 v128, v[20:23]
	ds_write_b128 v128, v[24:27] offset:16
	s_and_saveexec_b64 s[2:3], s[0:1]
	s_cbranch_execz .LBB0_7
; %bb.6:
	ds_write_b128 v126, v[28:31]
	ds_write_b128 v126, v[32:35] offset:16
.LBB0_7:
	s_or_b64 exec, exec, s[2:3]
	s_waitcnt lgkmcnt(0)
	s_barrier
	ds_read_b128 v[36:39], v121
	ds_read_b128 v[44:47], v121 offset:5600
	ds_read_b128 v[40:43], v121 offset:11200
	s_movk_i32 s2, 0x8c
	v_cmp_gt_u16_e64 s[2:3], s2, v124
	s_and_saveexec_b64 s[6:7], s[2:3]
	s_cbranch_execz .LBB0_9
; %bb.8:
	ds_read_b128 v[24:27], v121 offset:3360
	ds_read_b128 v[28:31], v121 offset:8960
	;; [unrolled: 1-line block ×3, first 2 shown]
.LBB0_9:
	s_or_b64 exec, exec, s[6:7]
	v_and_b32_e32 v125, 1, v124
	v_lshlrev_b32_e32 v49, 5, v125
	global_load_dwordx4 v[20:23], v49, s[4:5]
	global_load_dwordx4 v[16:19], v49, s[4:5] offset:16
	v_lshrrev_b32_e32 v49, 1, v124
	v_mul_u32_u24_e32 v67, 6, v49
	s_mov_b32 s6, 0xe8584caa
	s_mov_b32 s7, 0x3febb67a
	;; [unrolled: 1-line block ×4, first 2 shown]
	v_lshrrev_b32_e32 v129, 1, v48
	s_waitcnt vmcnt(0) lgkmcnt(0)
	s_barrier
	v_mul_f64 v[49:50], v[46:47], v[22:23]
	v_mul_f64 v[51:52], v[44:45], v[22:23]
	;; [unrolled: 1-line block ×8, first 2 shown]
	v_fma_f64 v[44:45], v[44:45], v[20:21], -v[49:50]
	v_fma_f64 v[46:47], v[46:47], v[20:21], v[51:52]
	v_fma_f64 v[49:50], v[40:41], v[16:17], -v[53:54]
	v_fma_f64 v[51:52], v[42:43], v[16:17], v[55:56]
	;; [unrolled: 2-line block ×4, first 2 shown]
	v_add_f64 v[53:54], v[36:37], v[44:45]
	v_add_f64 v[32:33], v[44:45], v[49:50]
	;; [unrolled: 1-line block ×3, first 2 shown]
	v_add_f64 v[57:58], v[46:47], -v[51:52]
	v_add_f64 v[46:47], v[38:39], v[46:47]
	v_add_f64 v[59:60], v[40:41], v[28:29]
	;; [unrolled: 1-line block ×3, first 2 shown]
	v_add_f64 v[34:35], v[42:43], -v[30:31]
	v_add_f64 v[63:64], v[44:45], -v[49:50]
	v_fma_f64 v[65:66], v[32:33], -0.5, v[36:37]
	v_fma_f64 v[55:56], v[55:56], -0.5, v[38:39]
	v_add_f64 v[38:39], v[40:41], -v[28:29]
	v_add_f64 v[44:45], v[53:54], v[49:50]
	v_fma_f64 v[32:33], v[59:60], -0.5, v[24:25]
	v_fma_f64 v[36:37], v[61:62], -0.5, v[26:27]
	v_add_f64 v[46:47], v[46:47], v[51:52]
	v_fma_f64 v[49:50], v[57:58], s[6:7], v[65:66]
	v_fma_f64 v[51:52], v[63:64], s[18:19], v[55:56]
	;; [unrolled: 1-line block ×6, first 2 shown]
	v_or_b32_e32 v57, v67, v125
	v_lshlrev_b32_e32 v130, 4, v57
	ds_write_b128 v130, v[44:47]
	ds_write_b128 v130, v[49:52] offset:32
	ds_write_b128 v130, v[53:56] offset:64
	s_and_saveexec_b64 s[18:19], s[2:3]
	s_cbranch_execz .LBB0_11
; %bb.10:
	v_add_f64 v[42:43], v[26:27], v[42:43]
	v_add_f64 v[24:25], v[24:25], v[40:41]
	v_mul_f64 v[38:39], v[38:39], s[6:7]
	v_mul_f64 v[34:35], v[34:35], s[6:7]
	v_add_f64 v[30:31], v[42:43], v[30:31]
	v_add_f64 v[28:29], v[24:25], v[28:29]
	v_add_f64 v[26:27], v[36:37], -v[38:39]
	v_add_f64 v[24:25], v[34:35], v[32:33]
	v_mul_u32_u24_e32 v32, 6, v129
	v_or_b32_e32 v32, v32, v125
	v_lshlrev_b32_e32 v32, 4, v32
	ds_write_b128 v32, v[28:31]
	ds_write_b128 v32, v[24:27] offset:32
	ds_write_b128 v32, v[80:83] offset:64
.LBB0_11:
	s_or_b64 exec, exec, s[18:19]
	s_movk_i32 s6, 0xab
	v_mul_lo_u16_sdwa v24, v124, s6 dst_sel:DWORD dst_unused:UNUSED_PAD src0_sel:BYTE_0 src1_sel:DWORD
	v_lshrrev_b16_e32 v60, 10, v24
	v_mul_lo_u16_e32 v24, 6, v60
	v_sub_u16_e32 v24, v124, v24
	v_and_b32_e32 v76, 0xff, v24
	v_lshlrev_b32_e32 v40, 6, v76
	s_waitcnt lgkmcnt(0)
	s_barrier
	global_load_dwordx4 v[36:39], v40, s[4:5] offset:64
	global_load_dwordx4 v[32:35], v40, s[4:5] offset:80
	;; [unrolled: 1-line block ×4, first 2 shown]
	ds_read_b128 v[40:43], v121
	ds_read_b128 v[44:47], v121 offset:3360
	ds_read_b128 v[48:51], v121 offset:6720
	;; [unrolled: 1-line block ×4, first 2 shown]
	s_movk_i32 s16, 0x89
	v_mul_lo_u16_sdwa v61, v124, s16 dst_sel:DWORD dst_unused:UNUSED_PAD src0_sel:BYTE_0 src1_sel:DWORD
	v_lshrrev_b16_e32 v96, 12, v61
	v_mul_u32_u24_e32 v77, 30, v60
	v_mul_lo_u16_e32 v60, 30, v96
	v_sub_u16_e32 v78, v124, v60
	v_and_b32_e32 v97, 0xff, v78
	v_add_lshl_u32 v132, v77, v76, 4
	s_mov_b32 s20, 0x134454ff
	s_mov_b32 s21, 0x3fee6f0e
	s_mov_b32 s25, 0xbfee6f0e
	s_mov_b32 s24, s20
	s_mov_b32 s6, 0x4755a5e
	s_mov_b32 s7, 0x3fe2cf23
	s_mov_b32 s23, 0xbfe2cf23
	s_mov_b32 s22, s6
	s_mov_b32 s18, 0x372fe950
	s_mov_b32 s19, 0x3fd3c6ef
	v_lshlrev_b32_e32 v98, 6, v97
	s_waitcnt vmcnt(0) lgkmcnt(0)
	s_barrier
	s_movk_i32 s16, 0x96
	v_mul_f64 v[60:61], v[46:47], v[38:39]
	v_mul_f64 v[62:63], v[44:45], v[38:39]
	;; [unrolled: 1-line block ×8, first 2 shown]
	v_fma_f64 v[44:45], v[44:45], v[36:37], -v[60:61]
	v_fma_f64 v[46:47], v[46:47], v[36:37], v[62:63]
	v_fma_f64 v[48:49], v[48:49], v[32:33], -v[64:65]
	v_fma_f64 v[50:51], v[50:51], v[32:33], v[66:67]
	;; [unrolled: 2-line block ×4, first 2 shown]
	v_add_f64 v[60:61], v[40:41], v[44:45]
	v_add_f64 v[78:79], v[42:43], v[46:47]
	v_add_f64 v[68:69], v[44:45], -v[48:49]
	v_add_f64 v[74:75], v[48:49], -v[44:45]
	v_add_f64 v[62:63], v[48:49], v[52:53]
	v_add_f64 v[84:85], v[50:51], v[54:55]
	v_add_f64 v[70:71], v[56:57], -v[52:53]
	v_add_f64 v[72:73], v[44:45], v[56:57]
	v_add_f64 v[92:93], v[46:47], v[58:59]
	v_add_f64 v[64:65], v[46:47], -v[58:59]
	v_add_f64 v[66:67], v[50:51], -v[54:55]
	;; [unrolled: 1-line block ×8, first 2 shown]
	v_add_f64 v[48:49], v[60:61], v[48:49]
	v_fma_f64 v[60:61], v[62:63], -0.5, v[40:41]
	v_add_f64 v[62:63], v[68:69], v[70:71]
	v_add_f64 v[50:51], v[78:79], v[50:51]
	v_fma_f64 v[70:71], v[84:85], -0.5, v[42:43]
	v_fma_f64 v[40:41], v[72:73], -0.5, v[40:41]
	;; [unrolled: 1-line block ×3, first 2 shown]
	v_add_f64 v[90:91], v[58:59], -v[54:55]
	v_add_f64 v[68:69], v[74:75], v[76:77]
	v_add_f64 v[74:75], v[46:47], v[94:95]
	;; [unrolled: 1-line block ×3, first 2 shown]
	v_fma_f64 v[48:49], v[64:65], s[20:21], v[60:61]
	v_add_f64 v[50:51], v[50:51], v[54:55]
	v_fma_f64 v[54:55], v[44:45], s[24:25], v[70:71]
	v_fma_f64 v[52:53], v[64:65], s[24:25], v[60:61]
	;; [unrolled: 1-line block ×7, first 2 shown]
	v_add_f64 v[72:73], v[88:89], v[90:91]
	v_add_f64 v[40:41], v[46:47], v[56:57]
	v_fma_f64 v[46:47], v[66:67], s[6:7], v[48:49]
	v_add_f64 v[42:43], v[50:51], v[58:59]
	v_fma_f64 v[50:51], v[86:87], s[22:23], v[54:55]
	v_fma_f64 v[48:49], v[66:67], s[22:23], v[52:53]
	;; [unrolled: 1-line block ×15, first 2 shown]
	ds_write_b128 v132, v[40:43]
	ds_write_b128 v132, v[44:47] offset:96
	ds_write_b128 v132, v[52:55] offset:192
	;; [unrolled: 1-line block ×4, first 2 shown]
	s_waitcnt lgkmcnt(0)
	s_barrier
	global_load_dwordx4 v[52:55], v98, s[4:5] offset:448
	global_load_dwordx4 v[48:51], v98, s[4:5] offset:464
	;; [unrolled: 1-line block ×4, first 2 shown]
	ds_read_b128 v[56:59], v121 offset:3360
	ds_read_b128 v[60:63], v121
	ds_read_b128 v[64:67], v121 offset:6720
	ds_read_b128 v[68:71], v121 offset:10080
	;; [unrolled: 1-line block ×3, first 2 shown]
	s_waitcnt vmcnt(0) lgkmcnt(0)
	s_barrier
	v_mul_f64 v[76:77], v[58:59], v[54:55]
	v_mul_f64 v[78:79], v[56:57], v[54:55]
	;; [unrolled: 1-line block ×8, first 2 shown]
	v_fma_f64 v[56:57], v[56:57], v[52:53], -v[76:77]
	v_fma_f64 v[58:59], v[58:59], v[52:53], v[78:79]
	v_fma_f64 v[64:65], v[64:65], v[48:49], -v[84:85]
	v_fma_f64 v[66:67], v[66:67], v[48:49], v[86:87]
	;; [unrolled: 2-line block ×3, first 2 shown]
	v_fma_f64 v[70:71], v[70:71], v[44:45], v[92:93]
	v_fma_f64 v[72:73], v[72:73], v[40:41], -v[94:95]
	v_mul_u32_u24_e32 v76, 0x96, v96
	v_add_lshl_u32 v131, v76, v97, 4
	v_add_f64 v[76:77], v[60:61], v[56:57]
	v_add_f64 v[98:99], v[62:63], v[58:59]
	;; [unrolled: 1-line block ×6, first 2 shown]
	v_add_f64 v[86:87], v[58:59], -v[74:75]
	v_add_f64 v[88:89], v[66:67], -v[70:71]
	;; [unrolled: 1-line block ×9, first 2 shown]
	v_add_f64 v[64:65], v[76:77], v[64:65]
	v_fma_f64 v[76:77], v[78:79], -0.5, v[60:61]
	v_add_f64 v[66:67], v[98:99], v[66:67]
	v_fma_f64 v[60:61], v[96:97], -0.5, v[60:61]
	v_fma_f64 v[78:79], v[100:101], -0.5, v[62:63]
	;; [unrolled: 1-line block ×3, first 2 shown]
	v_add_f64 v[90:91], v[72:73], -v[68:69]
	v_add_f64 v[104:105], v[74:75], -v[70:71]
	;; [unrolled: 1-line block ×3, first 2 shown]
	v_add_f64 v[94:95], v[92:93], v[94:95]
	v_add_f64 v[64:65], v[64:65], v[68:69]
	v_fma_f64 v[68:69], v[86:87], s[20:21], v[76:77]
	v_fma_f64 v[76:77], v[86:87], s[24:25], v[76:77]
	;; [unrolled: 1-line block ×4, first 2 shown]
	v_add_f64 v[66:67], v[66:67], v[70:71]
	v_fma_f64 v[70:71], v[56:57], s[24:25], v[78:79]
	v_fma_f64 v[78:79], v[56:57], s[20:21], v[78:79]
	;; [unrolled: 1-line block ×4, first 2 shown]
	v_add_f64 v[90:91], v[84:85], v[90:91]
	v_add_f64 v[102:103], v[102:103], v[104:105]
	;; [unrolled: 1-line block ×4, first 2 shown]
	v_fma_f64 v[64:65], v[88:89], s[6:7], v[68:69]
	v_fma_f64 v[68:69], v[88:89], s[22:23], v[76:77]
	;; [unrolled: 1-line block ×4, first 2 shown]
	v_add_f64 v[86:87], v[66:67], v[74:75]
	v_fma_f64 v[66:67], v[111:112], s[22:23], v[70:71]
	v_fma_f64 v[70:71], v[56:57], s[22:23], v[96:97]
	;; [unrolled: 1-line block ×12, first 2 shown]
	v_cmp_gt_u16_e64 s[6:7], s16, v124
	ds_write_b128 v131, v[84:87]
	ds_write_b128 v131, v[88:91] offset:480
	ds_write_b128 v131, v[92:95] offset:960
	ds_write_b128 v131, v[96:99] offset:1440
	ds_write_b128 v131, v[100:103] offset:1920
	s_waitcnt lgkmcnt(0)
	s_barrier
	s_waitcnt lgkmcnt(0)
                                        ; implicit-def: $vgpr104_vgpr105
	s_and_saveexec_b64 s[18:19], s[6:7]
	s_cbranch_execz .LBB0_13
; %bb.12:
	ds_read_b128 v[84:87], v121
	ds_read_b128 v[88:91], v121 offset:2400
	ds_read_b128 v[92:95], v121 offset:4800
	;; [unrolled: 1-line block ×6, first 2 shown]
.LBB0_13:
	s_or_b64 exec, exec, s[18:19]
	v_add_u32_e32 v56, 0xffffff6a, v124
	v_cndmask_b32_e64 v56, v56, v124, s[6:7]
	v_mul_hi_i32_i24_e32 v57, 0x60, v56
	v_mul_i32_i24_e32 v56, 0x60, v56
	v_mov_b32_e32 v58, s5
	v_add_co_u32_e32 v109, vcc, s4, v56
	v_addc_co_u32_e32 v110, vcc, v58, v57, vcc
	global_load_dwordx4 v[64:67], v[109:110], off offset:2368
	global_load_dwordx4 v[68:71], v[109:110], off offset:2384
	;; [unrolled: 1-line block ×6, first 2 shown]
	s_mov_b32 s18, 0x37e14327
	s_mov_b32 s4, 0x36b3c0b5
	;; [unrolled: 1-line block ×16, first 2 shown]
	s_waitcnt vmcnt(5) lgkmcnt(5)
	v_mul_f64 v[109:110], v[90:91], v[66:67]
	v_mul_f64 v[111:112], v[88:89], v[66:67]
	s_waitcnt vmcnt(4) lgkmcnt(4)
	v_mul_f64 v[113:114], v[94:95], v[70:71]
	v_mul_f64 v[115:116], v[92:93], v[70:71]
	;; [unrolled: 3-line block ×3, first 2 shown]
	s_waitcnt vmcnt(0)
	v_mul_f64 v[141:142], v[82:83], v[78:79]
	v_mul_f64 v[143:144], v[80:81], v[78:79]
	;; [unrolled: 1-line block ×6, first 2 shown]
	v_fma_f64 v[88:89], v[88:89], v[64:65], -v[109:110]
	v_fma_f64 v[90:91], v[90:91], v[64:65], v[111:112]
	v_fma_f64 v[92:93], v[92:93], v[68:69], -v[113:114]
	v_fma_f64 v[94:95], v[94:95], v[68:69], v[115:116]
	;; [unrolled: 2-line block ×6, first 2 shown]
	v_add_f64 v[109:110], v[88:89], v[104:105]
	v_add_f64 v[111:112], v[90:91], v[106:107]
	v_add_f64 v[88:89], v[88:89], -v[104:105]
	v_add_f64 v[90:91], v[90:91], -v[106:107]
	v_add_f64 v[104:105], v[92:93], v[80:81]
	v_add_f64 v[106:107], v[94:95], v[82:83]
	v_add_f64 v[80:81], v[92:93], -v[80:81]
	v_add_f64 v[82:83], v[94:95], -v[82:83]
	;; [unrolled: 4-line block ×4, first 2 shown]
	v_add_f64 v[109:110], v[109:110], -v[92:93]
	v_add_f64 v[111:112], v[111:112], -v[94:95]
	;; [unrolled: 1-line block ×4, first 2 shown]
	v_add_f64 v[117:118], v[96:97], v[80:81]
	v_add_f64 v[119:120], v[98:99], v[82:83]
	v_add_f64 v[133:134], v[96:97], -v[80:81]
	v_add_f64 v[135:136], v[98:99], -v[82:83]
	;; [unrolled: 1-line block ×4, first 2 shown]
	v_add_f64 v[100:101], v[92:93], v[100:101]
	v_add_f64 v[102:103], v[94:95], v[102:103]
	v_add_f64 v[96:97], v[88:89], -v[96:97]
	v_add_f64 v[98:99], v[90:91], -v[98:99]
	v_add_f64 v[88:89], v[117:118], v[88:89]
	v_add_f64 v[90:91], v[119:120], v[90:91]
	v_mul_f64 v[109:110], v[109:110], s[18:19]
	v_mul_f64 v[111:112], v[111:112], s[18:19]
	;; [unrolled: 1-line block ×8, first 2 shown]
	v_add_f64 v[92:93], v[84:85], v[100:101]
	v_add_f64 v[94:95], v[86:87], v[102:103]
	v_fma_f64 v[84:85], v[104:105], s[4:5], v[109:110]
	v_fma_f64 v[86:87], v[106:107], s[4:5], v[111:112]
	v_fma_f64 v[106:107], v[113:114], s[26:27], -v[117:118]
	v_fma_f64 v[117:118], v[115:116], s[26:27], -v[119:120]
	s_mov_b32 s27, 0xbfe77f67
	v_fma_f64 v[104:105], v[96:97], s[28:29], v[133:134]
	v_fma_f64 v[119:120], v[98:99], s[28:29], v[135:136]
	s_mov_b32 s29, 0xbfd5d0dc
	v_fma_f64 v[80:81], v[80:81], s[20:21], -v[133:134]
	v_fma_f64 v[82:83], v[82:83], s[20:21], -v[135:136]
	;; [unrolled: 1-line block ×6, first 2 shown]
	v_fma_f64 v[135:136], v[100:101], s[22:23], v[92:93]
	v_fma_f64 v[137:138], v[102:103], s[22:23], v[94:95]
	;; [unrolled: 1-line block ×8, first 2 shown]
	v_add_f64 v[102:103], v[106:107], v[135:136]
	v_add_f64 v[119:120], v[117:118], v[137:138]
	;; [unrolled: 1-line block ×7, first 2 shown]
	v_add_f64 v[86:87], v[119:120], -v[115:116]
	v_add_f64 v[88:89], v[106:107], -v[104:105]
	v_add_f64 v[90:91], v[111:112], v[117:118]
	v_add_f64 v[80:81], v[109:110], -v[96:97]
	v_add_f64 v[82:83], v[100:101], v[113:114]
	s_and_saveexec_b64 s[4:5], s[6:7]
	s_cbranch_execz .LBB0_15
; %bb.14:
	v_add_f64 v[115:116], v[115:116], v[119:120]
	v_add_f64 v[111:112], v[117:118], -v[111:112]
	v_add_f64 v[119:120], v[113:114], -v[100:101]
	v_add_f64 v[117:118], v[96:97], v[109:110]
	v_add_f64 v[109:110], v[104:105], v[106:107]
	v_add_f64 v[113:114], v[102:103], -v[98:99]
	ds_write_b128 v121, v[92:95]
	ds_write_b128 v121, v[117:120] offset:2400
	ds_write_b128 v121, v[109:112] offset:4800
	;; [unrolled: 1-line block ×6, first 2 shown]
.LBB0_15:
	s_or_b64 exec, exec, s[4:5]
	v_mov_b32_e32 v92, s17
	v_addc_co_u32_e64 v93, vcc, 0, v92, s[8:9]
	s_movk_i32 s4, 0x41a0
	v_add_co_u32_e32 v92, vcc, s4, v122
	s_movk_i32 s8, 0x4000
	s_mov_b64 s[4:5], vcc
	v_add_co_u32_e32 v106, vcc, s8, v122
	v_addc_co_u32_e32 v107, vcc, 0, v93, vcc
	s_movk_i32 s8, 0x6000
	v_add_co_u32_e32 v109, vcc, s8, v122
	v_addc_co_u32_e32 v110, vcc, 0, v93, vcc
	v_addc_co_u32_e64 v93, vcc, 0, v93, s[4:5]
	s_waitcnt lgkmcnt(0)
	s_barrier
	global_load_dwordx4 v[94:97], v[109:110], off offset:624
	global_load_dwordx4 v[98:101], v[106:107], off offset:416
	;; [unrolled: 1-line block ×3, first 2 shown]
	s_nop 0
	global_load_dwordx4 v[109:112], v[92:93], off offset:3360
	ds_read_b128 v[113:116], v121 offset:8400
	ds_read_b128 v[117:120], v121 offset:11760
	ds_read_b128 v[133:136], v121
	ds_read_b128 v[137:140], v121 offset:3360
	s_waitcnt vmcnt(3) lgkmcnt(3)
	v_mul_f64 v[106:107], v[115:116], v[96:97]
	v_mul_f64 v[96:97], v[113:114], v[96:97]
	s_waitcnt vmcnt(2) lgkmcnt(1)
	v_mul_f64 v[143:144], v[135:136], v[100:101]
	v_mul_f64 v[100:101], v[133:134], v[100:101]
	s_waitcnt vmcnt(0) lgkmcnt(0)
	v_mul_f64 v[145:146], v[139:140], v[111:112]
	v_mul_f64 v[147:148], v[137:138], v[111:112]
	v_mul_f64 v[141:142], v[119:120], v[104:105]
	v_mul_f64 v[149:150], v[117:118], v[104:105]
	v_fma_f64 v[104:105], v[113:114], v[94:95], -v[106:107]
	v_fma_f64 v[106:107], v[115:116], v[94:95], v[96:97]
	v_fma_f64 v[111:112], v[133:134], v[98:99], -v[143:144]
	v_fma_f64 v[113:114], v[135:136], v[98:99], v[100:101]
	v_fma_f64 v[98:99], v[137:138], v[109:110], -v[145:146]
	v_fma_f64 v[100:101], v[139:140], v[109:110], v[147:148]
	v_fma_f64 v[94:95], v[117:118], v[102:103], -v[141:142]
	v_fma_f64 v[96:97], v[119:120], v[102:103], v[149:150]
	ds_write_b128 v121, v[104:107] offset:8400
	ds_write_b128 v121, v[111:114]
	ds_write_b128 v121, v[98:101] offset:3360
	ds_write_b128 v121, v[94:97] offset:11760
	s_and_saveexec_b64 s[4:5], s[0:1]
	s_cbranch_execz .LBB0_17
; %bb.16:
	v_add_co_u32_e32 v94, vcc, 0x1000, v92
	v_addc_co_u32_e32 v95, vcc, 0, v93, vcc
	s_movk_i32 s8, 0x3000
	v_add_co_u32_e32 v92, vcc, s8, v92
	global_load_dwordx4 v[94:97], v[94:95], off offset:2624
	v_addc_co_u32_e32 v93, vcc, 0, v93, vcc
	global_load_dwordx4 v[98:101], v[92:93], off offset:2832
	ds_read_b128 v[102:105], v121 offset:6720
	ds_read_b128 v[109:112], v121 offset:15120
	s_waitcnt vmcnt(1) lgkmcnt(1)
	v_mul_f64 v[92:93], v[104:105], v[96:97]
	v_mul_f64 v[96:97], v[102:103], v[96:97]
	s_waitcnt vmcnt(0) lgkmcnt(0)
	v_mul_f64 v[106:107], v[111:112], v[100:101]
	v_mul_f64 v[100:101], v[109:110], v[100:101]
	v_fma_f64 v[92:93], v[102:103], v[94:95], -v[92:93]
	v_fma_f64 v[94:95], v[104:105], v[94:95], v[96:97]
	v_fma_f64 v[96:97], v[109:110], v[98:99], -v[106:107]
	v_fma_f64 v[98:99], v[111:112], v[98:99], v[100:101]
	ds_write_b128 v121, v[92:95] offset:6720
	ds_write_b128 v121, v[96:99] offset:15120
.LBB0_17:
	s_or_b64 exec, exec, s[4:5]
	s_waitcnt lgkmcnt(0)
	s_barrier
	ds_read_b128 v[100:103], v121
	ds_read_b128 v[104:107], v121 offset:3360
	ds_read_b128 v[96:99], v121 offset:8400
	;; [unrolled: 1-line block ×3, first 2 shown]
	s_and_saveexec_b64 s[4:5], s[0:1]
	s_cbranch_execz .LBB0_19
; %bb.18:
	ds_read_b128 v[84:87], v121 offset:6720
	ds_read_b128 v[88:91], v121 offset:15120
.LBB0_19:
	s_or_b64 exec, exec, s[4:5]
	s_waitcnt lgkmcnt(1)
	v_add_f64 v[109:110], v[100:101], -v[96:97]
	v_add_f64 v[111:112], v[102:103], -v[98:99]
	s_waitcnt lgkmcnt(0)
	v_add_f64 v[96:97], v[84:85], -v[88:89]
	v_add_f64 v[98:99], v[86:87], -v[90:91]
	;; [unrolled: 1-line block ×4, first 2 shown]
	s_barrier
	v_fma_f64 v[100:101], v[100:101], 2.0, -v[109:110]
	v_fma_f64 v[102:103], v[102:103], 2.0, -v[111:112]
	;; [unrolled: 1-line block ×6, first 2 shown]
	ds_write_b128 v127, v[109:112] offset:16
	ds_write_b128 v127, v[100:103]
	ds_write_b128 v128, v[104:107]
	ds_write_b128 v128, v[92:95] offset:16
	s_and_saveexec_b64 s[4:5], s[0:1]
	s_cbranch_execz .LBB0_21
; %bb.20:
	ds_write_b128 v126, v[88:91]
	ds_write_b128 v126, v[96:99] offset:16
.LBB0_21:
	s_or_b64 exec, exec, s[4:5]
	s_waitcnt lgkmcnt(0)
	s_barrier
	ds_read_b128 v[84:87], v121
	ds_read_b128 v[100:103], v121 offset:5600
	ds_read_b128 v[104:107], v121 offset:11200
	s_and_saveexec_b64 s[4:5], s[2:3]
	s_cbranch_execz .LBB0_23
; %bb.22:
	ds_read_b128 v[92:95], v121 offset:3360
	ds_read_b128 v[88:91], v121 offset:8960
	;; [unrolled: 1-line block ×3, first 2 shown]
.LBB0_23:
	s_or_b64 exec, exec, s[4:5]
	s_waitcnt lgkmcnt(1)
	v_mul_f64 v[109:110], v[22:23], v[102:103]
	s_waitcnt lgkmcnt(0)
	v_mul_f64 v[111:112], v[18:19], v[106:107]
	v_mul_f64 v[113:114], v[22:23], v[100:101]
	;; [unrolled: 1-line block ×7, first 2 shown]
	v_fma_f64 v[100:101], v[20:21], v[100:101], v[109:110]
	v_fma_f64 v[104:105], v[16:17], v[104:105], v[111:112]
	v_fma_f64 v[102:103], v[20:21], v[102:103], -v[113:114]
	v_fma_f64 v[106:107], v[16:17], v[106:107], -v[115:116]
	v_fma_f64 v[22:23], v[20:21], v[88:89], v[117:118]
	v_fma_f64 v[90:91], v[20:21], v[90:91], -v[119:120]
	v_fma_f64 v[20:21], v[16:17], v[96:97], v[126:127]
	v_fma_f64 v[88:89], v[16:17], v[98:99], -v[18:19]
	v_add_f64 v[18:19], v[84:85], v[100:101]
	v_add_f64 v[16:17], v[100:101], v[104:105]
	v_add_f64 v[115:116], v[100:101], -v[104:105]
	v_add_f64 v[98:99], v[102:103], v[106:107]
	v_add_f64 v[109:110], v[102:103], -v[106:107]
	v_add_f64 v[102:103], v[86:87], v[102:103]
	v_add_f64 v[111:112], v[22:23], v[20:21]
	;; [unrolled: 1-line block ×3, first 2 shown]
	v_add_f64 v[96:97], v[90:91], -v[88:89]
	v_fma_f64 v[16:17], v[16:17], -0.5, v[84:85]
	v_add_f64 v[100:101], v[18:19], v[104:105]
	v_fma_f64 v[18:19], v[98:99], -0.5, v[86:87]
	v_add_f64 v[98:99], v[22:23], -v[20:21]
	s_mov_b32 s4, 0xe8584caa
	v_fma_f64 v[84:85], v[111:112], -0.5, v[92:93]
	v_fma_f64 v[86:87], v[113:114], -0.5, v[94:95]
	s_mov_b32 s5, 0xbfebb67a
	s_mov_b32 s9, 0x3febb67a
	;; [unrolled: 1-line block ×3, first 2 shown]
	v_fma_f64 v[104:105], v[109:110], s[4:5], v[16:17]
	v_fma_f64 v[109:110], v[109:110], s[8:9], v[16:17]
	v_add_f64 v[102:103], v[102:103], v[106:107]
	v_fma_f64 v[106:107], v[115:116], s[8:9], v[18:19]
	v_fma_f64 v[111:112], v[115:116], s[4:5], v[18:19]
	;; [unrolled: 1-line block ×4, first 2 shown]
	s_barrier
	ds_write_b128 v130, v[100:103]
	ds_write_b128 v130, v[104:107] offset:32
	ds_write_b128 v130, v[109:112] offset:64
	s_and_saveexec_b64 s[4:5], s[2:3]
	s_cbranch_execz .LBB0_25
; %bb.24:
	v_mul_f64 v[98:99], v[98:99], s[8:9]
	v_add_f64 v[90:91], v[94:95], v[90:91]
	v_add_f64 v[92:93], v[92:93], v[22:23]
	v_mul_f64 v[94:95], v[96:97], s[8:9]
	v_add_f64 v[22:23], v[98:99], v[86:87]
	v_add_f64 v[88:89], v[90:91], v[88:89]
	;; [unrolled: 1-line block ×3, first 2 shown]
	v_add_f64 v[20:21], v[84:85], -v[94:95]
	v_mul_u32_u24_e32 v84, 6, v129
	v_or_b32_e32 v84, v84, v125
	v_lshlrev_b32_e32 v84, 4, v84
	ds_write_b128 v84, v[86:89]
	ds_write_b128 v84, v[20:23] offset:32
	ds_write_b128 v84, v[16:19] offset:64
.LBB0_25:
	s_or_b64 exec, exec, s[4:5]
	s_waitcnt lgkmcnt(0)
	s_barrier
	ds_read_b128 v[20:23], v121 offset:6720
	ds_read_b128 v[84:87], v121 offset:10080
	;; [unrolled: 1-line block ×4, first 2 shown]
	s_mov_b32 s2, 0x134454ff
	s_waitcnt lgkmcnt(3)
	v_mul_f64 v[96:97], v[34:35], v[22:23]
	s_waitcnt lgkmcnt(2)
	v_mul_f64 v[98:99], v[30:31], v[86:87]
	;; [unrolled: 2-line block ×3, first 2 shown]
	v_mul_f64 v[38:39], v[38:39], v[88:89]
	v_mul_f64 v[30:31], v[30:31], v[84:85]
	s_mov_b32 s3, 0xbfee6f0e
	s_mov_b32 s4, 0x4755a5e
	;; [unrolled: 1-line block ×3, first 2 shown]
	v_fma_f64 v[104:105], v[32:33], v[20:21], v[96:97]
	v_fma_f64 v[106:107], v[28:29], v[84:85], v[98:99]
	ds_read_b128 v[96:99], v121
	s_waitcnt lgkmcnt(1)
	v_mul_f64 v[102:103], v[26:27], v[92:93]
	v_mul_f64 v[20:21], v[34:35], v[20:21]
	;; [unrolled: 1-line block ×3, first 2 shown]
	v_fma_f64 v[34:35], v[36:37], v[88:89], v[100:101]
	v_fma_f64 v[36:37], v[36:37], v[90:91], -v[38:39]
	v_fma_f64 v[28:29], v[28:29], v[86:87], -v[30:31]
	v_add_f64 v[84:85], v[104:105], v[106:107]
	s_mov_b32 s19, 0x3fee6f0e
	v_fma_f64 v[38:39], v[24:25], v[94:95], -v[102:103]
	v_fma_f64 v[22:23], v[32:33], v[22:23], -v[20:21]
	v_fma_f64 v[26:27], v[24:25], v[92:93], v[26:27]
	s_waitcnt lgkmcnt(0)
	v_add_f64 v[20:21], v[96:97], v[34:35]
	s_mov_b32 s18, s2
	s_mov_b32 s8, 0x372fe950
	v_fma_f64 v[24:25], v[84:85], -0.5, v[96:97]
	v_add_f64 v[84:85], v[34:35], -v[104:105]
	v_add_f64 v[30:31], v[36:37], -v[38:39]
	;; [unrolled: 1-line block ×4, first 2 shown]
	v_add_f64 v[88:89], v[34:35], v[26:27]
	v_add_f64 v[20:21], v[20:21], v[104:105]
	;; [unrolled: 1-line block ×3, first 2 shown]
	s_mov_b32 s9, 0x3fd3c6ef
	v_add_f64 v[102:103], v[98:99], v[36:37]
	v_fma_f64 v[90:91], v[30:31], s[2:3], v[24:25]
	v_fma_f64 v[94:95], v[30:31], s[18:19], v[24:25]
	v_add_f64 v[84:85], v[84:85], v[86:87]
	v_fma_f64 v[86:87], v[88:89], -0.5, v[96:97]
	v_add_f64 v[20:21], v[20:21], v[106:107]
	s_mov_b32 s17, 0x3fe2cf23
	s_mov_b32 s16, s4
	v_add_f64 v[100:101], v[106:107], -v[26:27]
	v_fma_f64 v[88:89], v[32:33], s[4:5], v[90:91]
	v_add_f64 v[90:91], v[22:23], v[28:29]
	v_fma_f64 v[92:93], v[92:93], -0.5, v[98:99]
	v_fma_f64 v[96:97], v[32:33], s[18:19], v[86:87]
	v_add_f64 v[20:21], v[20:21], v[26:27]
	v_add_f64 v[26:27], v[34:35], -v[26:27]
	s_barrier
	v_fma_f64 v[24:25], v[84:85], s[8:9], v[88:89]
	v_add_f64 v[88:89], v[104:105], -v[34:35]
	v_fma_f64 v[90:91], v[90:91], -0.5, v[98:99]
	v_fma_f64 v[34:35], v[32:33], s[16:17], v[94:95]
	v_add_f64 v[94:95], v[104:105], -v[106:107]
	v_fma_f64 v[32:33], v[32:33], s[2:3], v[86:87]
	v_add_f64 v[86:87], v[102:103], v[22:23]
	v_add_f64 v[102:103], v[38:39], -v[28:29]
	v_fma_f64 v[96:97], v[30:31], s[4:5], v[96:97]
	v_add_f64 v[88:89], v[88:89], v[100:101]
	v_fma_f64 v[98:99], v[26:27], s[18:19], v[90:91]
	v_add_f64 v[100:101], v[36:37], -v[22:23]
	v_fma_f64 v[104:105], v[94:95], s[2:3], v[92:93]
	v_add_f64 v[22:23], v[22:23], -v[36:37]
	v_add_f64 v[36:37], v[28:29], -v[38:39]
	v_fma_f64 v[92:93], v[94:95], s[18:19], v[92:93]
	v_fma_f64 v[90:91], v[26:27], s[2:3], v[90:91]
	v_add_f64 v[86:87], v[86:87], v[28:29]
	v_fma_f64 v[98:99], v[94:95], s[16:17], v[98:99]
	v_add_f64 v[100:101], v[100:101], v[102:103]
	v_fma_f64 v[102:103], v[26:27], s[16:17], v[104:105]
	v_fma_f64 v[30:31], v[30:31], s[16:17], v[32:33]
	v_add_f64 v[104:105], v[22:23], v[36:37]
	v_fma_f64 v[92:93], v[26:27], s[4:5], v[92:93]
	;; [unrolled: 3-line block ×3, first 2 shown]
	v_fma_f64 v[26:27], v[100:101], s[8:9], v[98:99]
	v_fma_f64 v[32:33], v[88:89], s[8:9], v[96:97]
	;; [unrolled: 1-line block ×6, first 2 shown]
	ds_write_b128 v132, v[20:23]
	ds_write_b128 v132, v[24:27] offset:96
	ds_write_b128 v132, v[32:35] offset:192
	;; [unrolled: 1-line block ×4, first 2 shown]
	s_waitcnt lgkmcnt(0)
	s_barrier
	ds_read_b128 v[20:23], v121 offset:6720
	ds_read_b128 v[24:27], v121 offset:10080
	;; [unrolled: 1-line block ×4, first 2 shown]
	s_waitcnt lgkmcnt(3)
	v_mul_f64 v[36:37], v[50:51], v[22:23]
	s_waitcnt lgkmcnt(2)
	v_mul_f64 v[38:39], v[46:47], v[26:27]
	;; [unrolled: 2-line block ×3, first 2 shown]
	v_mul_f64 v[54:55], v[54:55], v[28:29]
	v_fma_f64 v[86:87], v[48:49], v[20:21], v[36:37]
	v_fma_f64 v[88:89], v[44:45], v[24:25], v[38:39]
	ds_read_b128 v[36:39], v121
	s_waitcnt lgkmcnt(1)
	v_mul_f64 v[90:91], v[42:43], v[32:33]
	v_fma_f64 v[28:29], v[52:53], v[28:29], v[84:85]
	v_mul_f64 v[20:21], v[50:51], v[20:21]
	v_fma_f64 v[30:31], v[52:53], v[30:31], -v[54:55]
	v_mul_f64 v[24:25], v[46:47], v[24:25]
	s_waitcnt lgkmcnt(0)
	v_add_f64 v[50:51], v[86:87], v[88:89]
	s_barrier
	v_fma_f64 v[52:53], v[40:41], v[34:35], -v[90:91]
	v_mul_f64 v[34:35], v[42:43], v[34:35]
	v_fma_f64 v[22:23], v[48:49], v[22:23], -v[20:21]
	v_add_f64 v[20:21], v[36:37], v[28:29]
	v_fma_f64 v[26:27], v[44:45], v[26:27], -v[24:25]
	v_add_f64 v[54:55], v[86:87], -v[28:29]
	v_fma_f64 v[42:43], v[50:51], -0.5, v[36:37]
	v_add_f64 v[90:91], v[38:39], v[30:31]
	v_add_f64 v[46:47], v[30:31], -v[52:53]
	v_fma_f64 v[32:33], v[40:41], v[32:33], v[34:35]
	v_add_f64 v[40:41], v[28:29], -v[86:87]
	v_add_f64 v[20:21], v[20:21], v[86:87]
	v_add_f64 v[34:35], v[22:23], -v[26:27]
	v_add_f64 v[50:51], v[30:31], v[52:53]
	v_fma_f64 v[24:25], v[46:47], s[2:3], v[42:43]
	v_add_f64 v[44:45], v[32:33], -v[88:89]
	v_add_f64 v[48:49], v[28:29], v[32:33]
	v_add_f64 v[20:21], v[20:21], v[88:89]
	v_fma_f64 v[42:43], v[46:47], s[18:19], v[42:43]
	v_add_f64 v[84:85], v[88:89], -v[32:33]
	v_add_f64 v[28:29], v[28:29], -v[32:33]
	v_fma_f64 v[24:25], v[34:35], s[4:5], v[24:25]
	v_add_f64 v[40:41], v[40:41], v[44:45]
	v_add_f64 v[44:45], v[22:23], v[26:27]
	v_fma_f64 v[36:37], v[48:49], -0.5, v[36:37]
	v_add_f64 v[20:21], v[20:21], v[32:33]
	v_fma_f64 v[32:33], v[34:35], s[16:17], v[42:43]
	v_add_f64 v[42:43], v[86:87], -v[88:89]
	v_add_f64 v[86:87], v[52:53], -v[26:27]
	v_fma_f64 v[24:25], v[40:41], s[8:9], v[24:25]
	v_fma_f64 v[44:45], v[44:45], -0.5, v[38:39]
	v_fma_f64 v[38:39], v[50:51], -0.5, v[38:39]
	v_fma_f64 v[48:49], v[34:35], s[18:19], v[36:37]
	v_add_f64 v[50:51], v[54:55], v[84:85]
	v_fma_f64 v[34:35], v[34:35], s[2:3], v[36:37]
	v_add_f64 v[36:37], v[90:91], v[22:23]
	v_add_f64 v[84:85], v[30:31], -v[22:23]
	v_add_f64 v[22:23], v[22:23], -v[30:31]
	v_fma_f64 v[54:55], v[28:29], s[18:19], v[44:45]
	v_fma_f64 v[88:89], v[42:43], s[2:3], v[38:39]
	v_add_f64 v[30:31], v[26:27], -v[52:53]
	v_fma_f64 v[38:39], v[42:43], s[18:19], v[38:39]
	v_fma_f64 v[44:45], v[28:29], s[2:3], v[44:45]
	;; [unrolled: 1-line block ×4, first 2 shown]
	v_add_f64 v[26:27], v[36:37], v[26:27]
	v_fma_f64 v[46:47], v[42:43], s[16:17], v[54:55]
	v_add_f64 v[54:55], v[84:85], v[86:87]
	v_fma_f64 v[84:85], v[28:29], s[16:17], v[88:89]
	;; [unrolled: 2-line block ×3, first 2 shown]
	v_fma_f64 v[42:43], v[42:43], s[4:5], v[44:45]
	v_fma_f64 v[36:37], v[40:41], s[8:9], v[32:33]
	;; [unrolled: 1-line block ×4, first 2 shown]
	v_add_f64 v[22:23], v[26:27], v[52:53]
	v_fma_f64 v[26:27], v[54:55], s[8:9], v[46:47]
	v_fma_f64 v[34:35], v[30:31], s[8:9], v[84:85]
	;; [unrolled: 1-line block ×4, first 2 shown]
	ds_write_b128 v131, v[20:23]
	ds_write_b128 v131, v[24:27] offset:480
	ds_write_b128 v131, v[32:35] offset:960
	;; [unrolled: 1-line block ×4, first 2 shown]
	s_waitcnt lgkmcnt(0)
	s_barrier
	s_and_saveexec_b64 s[2:3], s[6:7]
	s_cbranch_execz .LBB0_27
; %bb.26:
	ds_read_b128 v[20:23], v121
	ds_read_b128 v[24:27], v121 offset:2400
	ds_read_b128 v[32:35], v121 offset:4800
	;; [unrolled: 1-line block ×6, first 2 shown]
.LBB0_27:
	s_or_b64 exec, exec, s[2:3]
	s_and_saveexec_b64 s[2:3], s[6:7]
	s_cbranch_execz .LBB0_29
; %bb.28:
	s_waitcnt lgkmcnt(5)
	v_mul_f64 v[40:41], v[66:67], v[26:27]
	s_waitcnt lgkmcnt(2)
	v_mul_f64 v[44:45], v[58:59], v[38:39]
	v_mul_f64 v[46:47], v[62:63], v[30:31]
	;; [unrolled: 1-line block ×3, first 2 shown]
	s_waitcnt lgkmcnt(1)
	v_mul_f64 v[50:51], v[78:79], v[18:19]
	s_waitcnt lgkmcnt(0)
	v_mul_f64 v[52:53], v[74:75], v[80:81]
	v_mul_f64 v[54:55], v[66:67], v[24:25]
	;; [unrolled: 1-line block ×5, first 2 shown]
	v_fma_f64 v[44:45], v[56:57], v[36:37], v[44:45]
	v_fma_f64 v[46:47], v[60:61], v[28:29], v[46:47]
	;; [unrolled: 1-line block ×4, first 2 shown]
	v_fma_f64 v[48:49], v[72:73], v[82:83], -v[52:53]
	v_fma_f64 v[26:27], v[64:65], v[26:27], -v[54:55]
	v_fma_f64 v[50:51], v[76:77], v[18:19], -v[66:67]
	v_fma_f64 v[34:35], v[68:69], v[34:35], -v[70:71]
	v_mul_f64 v[18:19], v[62:63], v[28:29]
	v_mul_f64 v[28:29], v[58:59], v[36:37]
	v_fma_f64 v[24:25], v[64:65], v[24:25], v[40:41]
	v_fma_f64 v[36:37], v[72:73], v[80:81], v[42:43]
	v_add_f64 v[40:41], v[44:45], -v[46:47]
	v_add_f64 v[42:43], v[32:33], -v[16:17]
	v_add_f64 v[52:53], v[26:27], v[48:49]
	v_add_f64 v[54:55], v[34:35], v[50:51]
	v_fma_f64 v[30:31], v[60:61], v[30:31], -v[18:19]
	v_fma_f64 v[28:29], v[56:57], v[38:39], -v[28:29]
	s_mov_b32 s6, 0xe976ee23
	v_add_f64 v[38:39], v[24:25], -v[36:37]
	s_mov_b32 s7, 0x3fe11646
	v_add_f64 v[18:19], v[40:41], -v[42:43]
	v_add_f64 v[24:25], v[24:25], v[36:37]
	v_add_f64 v[56:57], v[54:55], v[52:53]
	;; [unrolled: 1-line block ×4, first 2 shown]
	v_add_f64 v[28:29], v[28:29], -v[30:31]
	v_add_f64 v[60:61], v[38:39], -v[40:41]
	;; [unrolled: 1-line block ×3, first 2 shown]
	v_mul_f64 v[62:63], v[18:19], s[6:7]
	v_add_f64 v[18:19], v[40:41], v[42:43]
	v_add_f64 v[44:45], v[46:47], v[44:45]
	s_mov_b32 s8, 0x37e14327
	v_add_f64 v[40:41], v[58:59], v[56:57]
	v_add_f64 v[56:57], v[52:53], -v[58:59]
	v_add_f64 v[26:27], v[26:27], -v[48:49]
	;; [unrolled: 1-line block ×3, first 2 shown]
	s_mov_b32 s9, 0x3fe948f6
	v_add_f64 v[36:37], v[18:19], v[38:39]
	s_mov_b32 s5, 0xbfd5d0dc
	s_mov_b32 s4, 0xb247c609
	v_add_f64 v[18:19], v[22:23], v[40:41]
	v_add_f64 v[22:23], v[58:59], -v[54:55]
	v_add_f64 v[58:59], v[32:33], v[24:25]
	v_mul_f64 v[56:57], v[56:57], s[8:9]
	v_add_f64 v[38:39], v[42:43], -v[38:39]
	v_fma_f64 v[16:17], v[60:61], s[4:5], v[62:63]
	s_mov_b32 s16, 0xaaaaaaaa
	s_mov_b32 s18, 0x36b3c0b5
	v_mul_f64 v[48:49], v[48:49], s[6:7]
	s_mov_b32 s6, 0x429ad128
	v_add_f64 v[46:47], v[44:45], v[58:59]
	s_mov_b32 s17, 0xbff2aaaa
	s_mov_b32 s19, 0x3fac98ee
	;; [unrolled: 1-line block ×3, first 2 shown]
	v_add_f64 v[50:51], v[24:25], -v[44:45]
	v_add_f64 v[42:43], v[26:27], -v[28:29]
	s_mov_b32 s7, 0xbfebfeb5
	v_fma_f64 v[40:41], v[40:41], s[16:17], v[18:19]
	v_fma_f64 v[34:35], v[22:23], s[18:19], v[56:57]
	s_mov_b32 s21, 0xbfdc38aa
	v_mul_f64 v[66:67], v[38:39], s[6:7]
	v_add_f64 v[52:53], v[54:55], -v[52:53]
	v_add_f64 v[54:55], v[30:31], -v[26:27]
	v_fma_f64 v[58:59], v[36:37], s[20:21], v[16:17]
	v_add_f64 v[16:17], v[20:21], v[46:47]
	v_add_f64 v[20:21], v[44:45], -v[32:33]
	v_mul_f64 v[44:45], v[50:51], s[8:9]
	v_fma_f64 v[68:69], v[42:43], s[4:5], v[48:49]
	v_add_f64 v[24:25], v[32:33], -v[24:25]
	v_add_f64 v[28:29], v[28:29], v[30:31]
	s_mov_b32 s5, 0x3fd5d0dc
	s_mov_b32 s9, 0xbfe77f67
	;; [unrolled: 1-line block ×3, first 2 shown]
	v_add_f64 v[64:65], v[34:35], v[40:41]
	v_mul_f64 v[34:35], v[22:23], s[18:19]
	v_fma_f64 v[30:31], v[60:61], s[4:5], -v[66:67]
	v_fma_f64 v[32:33], v[52:53], s[8:9], -v[56:57]
	v_mul_f64 v[56:57], v[54:55], s[6:7]
	v_mul_f64 v[50:51], v[20:21], s[18:19]
	v_fma_f64 v[46:47], v[46:47], s[16:17], v[16:17]
	v_fma_f64 v[20:21], v[20:21], s[18:19], v[44:45]
	v_fma_f64 v[44:45], v[24:25], s[8:9], -v[44:45]
	s_mov_b32 s9, 0x3fe77f67
	v_add_f64 v[26:27], v[28:29], v[26:27]
	v_fma_f64 v[34:35], v[52:53], s[8:9], -v[34:35]
	v_fma_f64 v[38:39], v[38:39], s[6:7], -v[62:63]
	v_fma_f64 v[28:29], v[36:37], s[20:21], v[30:31]
	v_fma_f64 v[30:31], v[42:43], s[4:5], -v[56:57]
	v_fma_f64 v[24:25], v[24:25], s[8:9], -v[50:51]
	;; [unrolled: 1-line block ×3, first 2 shown]
	v_add_f64 v[20:21], v[20:21], v[46:47]
	v_fma_f64 v[48:49], v[26:27], s[20:21], v[68:69]
	v_add_f64 v[32:33], v[32:33], v[40:41]
	v_add_f64 v[34:35], v[34:35], v[40:41]
	v_fma_f64 v[36:37], v[36:37], s[20:21], v[38:39]
	v_add_f64 v[44:45], v[44:45], v[46:47]
	v_fma_f64 v[50:51], v[26:27], s[20:21], v[30:31]
	;; [unrolled: 2-line block ×3, first 2 shown]
	v_add_f64 v[42:43], v[64:65], -v[58:59]
	v_add_f64 v[40:41], v[48:49], v[20:21]
	v_add_f64 v[38:39], v[32:33], -v[28:29]
	v_add_f64 v[30:31], v[34:35], -v[36:37]
	v_add_f64 v[34:35], v[36:37], v[34:35]
	v_add_f64 v[36:37], v[50:51], v[44:45]
	v_add_f64 v[26:27], v[28:29], v[32:33]
	v_add_f64 v[32:33], v[24:25], -v[46:47]
	v_add_f64 v[28:29], v[46:47], v[24:25]
	v_add_f64 v[24:25], v[44:45], -v[50:51]
	v_add_f64 v[22:23], v[58:59], v[64:65]
	v_add_f64 v[20:21], v[20:21], -v[48:49]
	ds_write_b128 v121, v[16:19]
	ds_write_b128 v121, v[40:43] offset:2400
	ds_write_b128 v121, v[36:39] offset:4800
	;; [unrolled: 1-line block ×6, first 2 shown]
.LBB0_29:
	s_or_b64 exec, exec, s[2:3]
	s_waitcnt lgkmcnt(0)
	s_barrier
	ds_read_b128 v[16:19], v121
	ds_read_b128 v[20:23], v121 offset:3360
	v_mad_u64_u32 v[28:29], s[2:3], s14, v108, 0
	v_mov_b32_e32 v34, s11
	s_waitcnt lgkmcnt(1)
	v_mul_f64 v[25:26], v[14:15], v[18:19]
	v_mul_f64 v[14:15], v[14:15], v[16:17]
	v_mov_b32_e32 v24, v29
	s_mul_hi_u32 s7, s12, 0xfffffec5
	s_mul_i32 s6, s13, 0xfffffec5
	s_sub_i32 s7, s7, s12
	s_add_i32 s7, s7, s6
	s_mul_i32 s6, s12, 0xfffffec5
	v_mad_u64_u32 v[29:30], s[2:3], s15, v108, v[24:25]
	v_mad_u64_u32 v[30:31], s[2:3], s12, v124, 0
	v_fma_f64 v[16:17], v[12:13], v[16:17], v[25:26]
	v_fma_f64 v[18:19], v[12:13], v[18:19], -v[14:15]
	v_mov_b32_e32 v12, v31
	v_mad_u64_u32 v[24:25], s[4:5], s13, v124, v[12:13]
	ds_read_b128 v[12:15], v121 offset:8400
	v_lshlrev_b64 v[28:29], 4, v[28:29]
	v_mov_b32_e32 v31, v24
	ds_read_b128 v[24:27], v121 offset:11760
	v_add_co_u32_e32 v28, vcc, s10, v28
	s_waitcnt lgkmcnt(1)
	v_mul_f64 v[32:33], v[2:3], v[14:15]
	v_mul_f64 v[2:3], v[2:3], v[12:13]
	s_mov_b32 s2, 0x859b8cec
	v_addc_co_u32_e32 v29, vcc, v34, v29, vcc
	s_mov_b32 s3, 0x3f4f3526
	v_mul_f64 v[16:17], v[16:17], s[2:3]
	v_mul_f64 v[18:19], v[18:19], s[2:3]
	v_fma_f64 v[12:13], v[0:1], v[12:13], v[32:33]
	v_fma_f64 v[2:3], v[0:1], v[14:15], -v[2:3]
	v_lshlrev_b64 v[0:1], 4, v[30:31]
	s_mul_i32 s4, s13, 0x20d
	v_add_co_u32_e32 v14, vcc, v28, v0
	v_addc_co_u32_e32 v15, vcc, v29, v1, vcc
	v_mul_f64 v[0:1], v[12:13], s[2:3]
	v_mul_f64 v[12:13], v[6:7], v[22:23]
	;; [unrolled: 1-line block ×4, first 2 shown]
	s_mul_hi_u32 s5, s12, 0x20d
	s_add_i32 s5, s5, s4
	s_mul_i32 s4, s12, 0x20d
	s_lshl_b64 s[4:5], s[4:5], 4
	global_store_dwordx4 v[14:15], v[16:19], off
	v_fma_f64 v[12:13], v[4:5], v[20:21], v[12:13]
	v_fma_f64 v[4:5], v[4:5], v[22:23], -v[6:7]
	s_waitcnt lgkmcnt(0)
	v_mul_f64 v[6:7], v[10:11], v[26:27]
	v_mul_f64 v[10:11], v[10:11], v[24:25]
	v_mov_b32_e32 v16, s5
	v_add_co_u32_e32 v14, vcc, s4, v14
	v_addc_co_u32_e32 v15, vcc, v15, v16, vcc
	global_store_dwordx4 v[14:15], v[0:3], off
	s_lshl_b64 s[6:7], s[6:7], 4
	v_mul_f64 v[2:3], v[4:5], s[2:3]
	v_fma_f64 v[4:5], v[8:9], v[24:25], v[6:7]
	v_fma_f64 v[6:7], v[8:9], v[26:27], -v[10:11]
	v_mul_f64 v[0:1], v[12:13], s[2:3]
	v_mov_b32_e32 v9, s7
	v_add_co_u32_e32 v8, vcc, s6, v14
	v_addc_co_u32_e32 v9, vcc, v15, v9, vcc
	v_mul_f64 v[4:5], v[4:5], s[2:3]
	v_mul_f64 v[6:7], v[6:7], s[2:3]
	global_store_dwordx4 v[8:9], v[0:3], off
	s_nop 0
	v_add_co_u32_e32 v0, vcc, s4, v8
	v_addc_co_u32_e32 v1, vcc, v9, v16, vcc
	global_store_dwordx4 v[0:1], v[4:7], off
	s_and_b64 exec, exec, s[0:1]
	s_cbranch_execz .LBB0_31
; %bb.30:
	v_add_co_u32_e32 v2, vcc, 0x1000, v122
	v_addc_co_u32_e32 v3, vcc, 0, v123, vcc
	s_movk_i32 s0, 0x3000
	v_add_co_u32_e32 v6, vcc, s0, v122
	global_load_dwordx4 v[2:5], v[2:3], off offset:2624
	v_addc_co_u32_e32 v7, vcc, 0, v123, vcc
	global_load_dwordx4 v[6:9], v[6:7], off offset:2832
	ds_read_b128 v[10:13], v121 offset:6720
	ds_read_b128 v[14:17], v121 offset:15120
	v_add_co_u32_e32 v0, vcc, s6, v0
	s_waitcnt vmcnt(1) lgkmcnt(1)
	v_mul_f64 v[18:19], v[12:13], v[4:5]
	v_mul_f64 v[4:5], v[10:11], v[4:5]
	s_waitcnt vmcnt(0) lgkmcnt(0)
	v_mul_f64 v[20:21], v[16:17], v[8:9]
	v_mul_f64 v[8:9], v[14:15], v[8:9]
	v_fma_f64 v[10:11], v[10:11], v[2:3], v[18:19]
	v_fma_f64 v[4:5], v[2:3], v[12:13], -v[4:5]
	v_fma_f64 v[12:13], v[14:15], v[6:7], v[20:21]
	v_fma_f64 v[8:9], v[6:7], v[16:17], -v[8:9]
	v_mov_b32_e32 v14, s7
	v_addc_co_u32_e32 v1, vcc, v1, v14, vcc
	v_mul_f64 v[2:3], v[10:11], s[2:3]
	v_mul_f64 v[4:5], v[4:5], s[2:3]
	v_mov_b32_e32 v15, s5
	v_mul_f64 v[6:7], v[12:13], s[2:3]
	v_mul_f64 v[8:9], v[8:9], s[2:3]
	v_add_co_u32_e32 v10, vcc, s4, v0
	v_addc_co_u32_e32 v11, vcc, v1, v15, vcc
	global_store_dwordx4 v[0:1], v[2:5], off
	global_store_dwordx4 v[10:11], v[6:9], off
.LBB0_31:
	s_endpgm
	.section	.rodata,"a",@progbits
	.p2align	6, 0x0
	.amdhsa_kernel bluestein_single_fwd_len1050_dim1_dp_op_CI_CI
		.amdhsa_group_segment_fixed_size 16800
		.amdhsa_private_segment_fixed_size 0
		.amdhsa_kernarg_size 104
		.amdhsa_user_sgpr_count 6
		.amdhsa_user_sgpr_private_segment_buffer 1
		.amdhsa_user_sgpr_dispatch_ptr 0
		.amdhsa_user_sgpr_queue_ptr 0
		.amdhsa_user_sgpr_kernarg_segment_ptr 1
		.amdhsa_user_sgpr_dispatch_id 0
		.amdhsa_user_sgpr_flat_scratch_init 0
		.amdhsa_user_sgpr_private_segment_size 0
		.amdhsa_uses_dynamic_stack 0
		.amdhsa_system_sgpr_private_segment_wavefront_offset 0
		.amdhsa_system_sgpr_workgroup_id_x 1
		.amdhsa_system_sgpr_workgroup_id_y 0
		.amdhsa_system_sgpr_workgroup_id_z 0
		.amdhsa_system_sgpr_workgroup_info 0
		.amdhsa_system_vgpr_workitem_id 0
		.amdhsa_next_free_vgpr 151
		.amdhsa_next_free_sgpr 32
		.amdhsa_reserve_vcc 1
		.amdhsa_reserve_flat_scratch 0
		.amdhsa_float_round_mode_32 0
		.amdhsa_float_round_mode_16_64 0
		.amdhsa_float_denorm_mode_32 3
		.amdhsa_float_denorm_mode_16_64 3
		.amdhsa_dx10_clamp 1
		.amdhsa_ieee_mode 1
		.amdhsa_fp16_overflow 0
		.amdhsa_exception_fp_ieee_invalid_op 0
		.amdhsa_exception_fp_denorm_src 0
		.amdhsa_exception_fp_ieee_div_zero 0
		.amdhsa_exception_fp_ieee_overflow 0
		.amdhsa_exception_fp_ieee_underflow 0
		.amdhsa_exception_fp_ieee_inexact 0
		.amdhsa_exception_int_div_zero 0
	.end_amdhsa_kernel
	.text
.Lfunc_end0:
	.size	bluestein_single_fwd_len1050_dim1_dp_op_CI_CI, .Lfunc_end0-bluestein_single_fwd_len1050_dim1_dp_op_CI_CI
                                        ; -- End function
	.section	.AMDGPU.csdata,"",@progbits
; Kernel info:
; codeLenInByte = 8976
; NumSgprs: 36
; NumVgprs: 151
; ScratchSize: 0
; MemoryBound: 0
; FloatMode: 240
; IeeeMode: 1
; LDSByteSize: 16800 bytes/workgroup (compile time only)
; SGPRBlocks: 4
; VGPRBlocks: 37
; NumSGPRsForWavesPerEU: 36
; NumVGPRsForWavesPerEU: 151
; Occupancy: 1
; WaveLimiterHint : 1
; COMPUTE_PGM_RSRC2:SCRATCH_EN: 0
; COMPUTE_PGM_RSRC2:USER_SGPR: 6
; COMPUTE_PGM_RSRC2:TRAP_HANDLER: 0
; COMPUTE_PGM_RSRC2:TGID_X_EN: 1
; COMPUTE_PGM_RSRC2:TGID_Y_EN: 0
; COMPUTE_PGM_RSRC2:TGID_Z_EN: 0
; COMPUTE_PGM_RSRC2:TIDIG_COMP_CNT: 0
	.type	__hip_cuid_82616336fc4152ab,@object ; @__hip_cuid_82616336fc4152ab
	.section	.bss,"aw",@nobits
	.globl	__hip_cuid_82616336fc4152ab
__hip_cuid_82616336fc4152ab:
	.byte	0                               ; 0x0
	.size	__hip_cuid_82616336fc4152ab, 1

	.ident	"AMD clang version 19.0.0git (https://github.com/RadeonOpenCompute/llvm-project roc-6.4.0 25133 c7fe45cf4b819c5991fe208aaa96edf142730f1d)"
	.section	".note.GNU-stack","",@progbits
	.addrsig
	.addrsig_sym __hip_cuid_82616336fc4152ab
	.amdgpu_metadata
---
amdhsa.kernels:
  - .args:
      - .actual_access:  read_only
        .address_space:  global
        .offset:         0
        .size:           8
        .value_kind:     global_buffer
      - .actual_access:  read_only
        .address_space:  global
        .offset:         8
        .size:           8
        .value_kind:     global_buffer
      - .actual_access:  read_only
        .address_space:  global
        .offset:         16
        .size:           8
        .value_kind:     global_buffer
      - .actual_access:  read_only
        .address_space:  global
        .offset:         24
        .size:           8
        .value_kind:     global_buffer
      - .actual_access:  read_only
        .address_space:  global
        .offset:         32
        .size:           8
        .value_kind:     global_buffer
      - .offset:         40
        .size:           8
        .value_kind:     by_value
      - .address_space:  global
        .offset:         48
        .size:           8
        .value_kind:     global_buffer
      - .address_space:  global
        .offset:         56
        .size:           8
        .value_kind:     global_buffer
      - .address_space:  global
        .offset:         64
        .size:           8
        .value_kind:     global_buffer
      - .address_space:  global
        .offset:         72
        .size:           8
        .value_kind:     global_buffer
      - .offset:         80
        .size:           4
        .value_kind:     by_value
      - .address_space:  global
        .offset:         88
        .size:           8
        .value_kind:     global_buffer
      - .address_space:  global
        .offset:         96
        .size:           8
        .value_kind:     global_buffer
    .group_segment_fixed_size: 16800
    .kernarg_segment_align: 8
    .kernarg_segment_size: 104
    .language:       OpenCL C
    .language_version:
      - 2
      - 0
    .max_flat_workgroup_size: 210
    .name:           bluestein_single_fwd_len1050_dim1_dp_op_CI_CI
    .private_segment_fixed_size: 0
    .sgpr_count:     36
    .sgpr_spill_count: 0
    .symbol:         bluestein_single_fwd_len1050_dim1_dp_op_CI_CI.kd
    .uniform_work_group_size: 1
    .uses_dynamic_stack: false
    .vgpr_count:     151
    .vgpr_spill_count: 0
    .wavefront_size: 64
amdhsa.target:   amdgcn-amd-amdhsa--gfx906
amdhsa.version:
  - 1
  - 2
...

	.end_amdgpu_metadata
